;; amdgpu-corpus repo=ROCm/HIPIFY kind=compiled arch=gfx1250 opt=O3
	.amdgcn_target "amdgcn-amd-amdhsa--gfx1250"
	.amdhsa_code_object_version 6
	.text
	.protected	_Z2fnPfS_               ; -- Begin function _Z2fnPfS_
	.globl	_Z2fnPfS_
	.p2align	8
	.type	_Z2fnPfS_,@function
_Z2fnPfS_:                              ; @_Z2fnPfS_
; %bb.0:
	s_load_b128 s[44:47], s[0:1], 0x0
	s_wait_kmcnt 0x0
	s_clause 0x3
	s_load_b512 s[16:31], s[44:45], 0x0
	s_load_b512 s[0:15], s[44:45], 0x40
	s_load_b64 s[34:35], s[44:45], 0xa0
	s_load_b256 s[36:43], s[44:45], 0x80
	s_wait_kmcnt 0x0
	s_cmp_ngt_f32 s16, 0
	s_cbranch_scc1 .LBB0_2
; %bb.1:
	v_dual_mov_b32 v0, 0 :: v_dual_mov_b32 v1, s35
	s_add_nc_u64 s[48:49], s[44:45], 0xa4
	s_add_nc_u64 s[44:45], s[46:47], 0x110
	global_store_b32 v0, v1, s[46:47] offset:272
	s_cmp_ngt_f32 s17, 0
	s_cbranch_scc0 .LBB0_3
	s_branch .LBB0_4
.LBB0_2:
	s_add_nc_u64 s[48:49], s[44:45], 0xa8
	s_add_nc_u64 s[44:45], s[46:47], 0x114
	s_cmp_ngt_f32 s17, 0
	s_cbranch_scc1 .LBB0_4
.LBB0_3:
	s_wait_xcnt 0x0
	v_mov_b32_e32 v0, 0
	s_add_nc_u64 s[16:17], s[44:45], -4
	global_load_b32 v1, v0, s[48:49] offset:-4
	s_wait_xcnt 0x0
	s_add_nc_u64 s[48:49], s[48:49], -4
	s_wait_loadcnt 0x0
	global_store_b32 v0, v1, s[44:45] offset:-4
	s_wait_xcnt 0x0
	s_mov_b64 s[44:45], s[16:17]
.LBB0_4:
	s_cmp_ngt_f32 s18, 0
	s_cbranch_scc0 .LBB0_45
; %bb.5:
	s_cmp_ngt_f32 s19, 0
	s_cbranch_scc0 .LBB0_46
.LBB0_6:
	s_cmp_ngt_f32 s20, 0
	s_cbranch_scc0 .LBB0_47
.LBB0_7:
	s_cmp_ngt_f32 s21, 0
	s_cbranch_scc0 .LBB0_48
.LBB0_8:
	s_cmp_ngt_f32 s22, 0
	s_cbranch_scc0 .LBB0_49
.LBB0_9:
	s_cmp_ngt_f32 s23, 0
	s_cbranch_scc0 .LBB0_50
.LBB0_10:
	s_cmp_ngt_f32 s24, 0
	s_cbranch_scc0 .LBB0_51
.LBB0_11:
	s_cmp_ngt_f32 s25, 0
	s_cbranch_scc0 .LBB0_52
.LBB0_12:
	s_cmp_ngt_f32 s26, 0
	s_cbranch_scc0 .LBB0_53
.LBB0_13:
	s_cmp_ngt_f32 s27, 0
	s_cbranch_scc0 .LBB0_54
.LBB0_14:
	s_cmp_ngt_f32 s28, 0
	s_cbranch_scc0 .LBB0_55
.LBB0_15:
	s_cmp_ngt_f32 s29, 0
	s_cbranch_scc0 .LBB0_56
.LBB0_16:
	s_cmp_ngt_f32 s30, 0
	s_cbranch_scc0 .LBB0_57
.LBB0_17:
	s_cmp_ngt_f32 s31, 0
	s_cbranch_scc0 .LBB0_58
.LBB0_18:
	s_cmp_ngt_f32 s0, 0
	s_cbranch_scc0 .LBB0_59
.LBB0_19:
	s_cmp_ngt_f32 s1, 0
	s_cbranch_scc0 .LBB0_60
.LBB0_20:
	s_cmp_ngt_f32 s2, 0
	s_cbranch_scc0 .LBB0_61
.LBB0_21:
	s_cmp_ngt_f32 s3, 0
	s_cbranch_scc0 .LBB0_62
.LBB0_22:
	s_cmp_ngt_f32 s4, 0
	s_cbranch_scc0 .LBB0_63
.LBB0_23:
	s_cmp_ngt_f32 s5, 0
	s_cbranch_scc0 .LBB0_64
.LBB0_24:
	s_cmp_ngt_f32 s6, 0
	s_cbranch_scc0 .LBB0_65
.LBB0_25:
	s_cmp_ngt_f32 s7, 0
	s_cbranch_scc0 .LBB0_66
.LBB0_26:
	s_cmp_ngt_f32 s8, 0
	s_cbranch_scc0 .LBB0_67
.LBB0_27:
	s_cmp_ngt_f32 s9, 0
	s_cbranch_scc0 .LBB0_68
.LBB0_28:
	s_cmp_ngt_f32 s10, 0
	s_cbranch_scc0 .LBB0_69
.LBB0_29:
	s_cmp_ngt_f32 s11, 0
	s_cbranch_scc0 .LBB0_70
.LBB0_30:
	s_cmp_ngt_f32 s12, 0
	s_cbranch_scc0 .LBB0_71
.LBB0_31:
	s_cmp_ngt_f32 s13, 0
	s_cbranch_scc0 .LBB0_72
.LBB0_32:
	s_cmp_ngt_f32 s14, 0
	s_cbranch_scc0 .LBB0_73
.LBB0_33:
	s_cmp_ngt_f32 s15, 0
	s_cbranch_scc0 .LBB0_74
.LBB0_34:
	s_cmp_ngt_f32 s36, 0
	s_cbranch_scc0 .LBB0_75
.LBB0_35:
	s_cmp_ngt_f32 s37, 0
	s_cbranch_scc0 .LBB0_76
.LBB0_36:
	s_cmp_ngt_f32 s38, 0
	s_cbranch_scc0 .LBB0_77
.LBB0_37:
	s_cmp_ngt_f32 s39, 0
	s_cbranch_scc0 .LBB0_78
.LBB0_38:
	s_cmp_ngt_f32 s40, 0
	s_cbranch_scc0 .LBB0_79
.LBB0_39:
	s_cmp_ngt_f32 s41, 0
	s_cbranch_scc0 .LBB0_80
.LBB0_40:
	s_cmp_ngt_f32 s42, 0
	s_cbranch_scc0 .LBB0_81
.LBB0_41:
	s_cmp_ngt_f32 s43, 0
	s_cbranch_scc0 .LBB0_82
.LBB0_42:
	s_cmp_ngt_f32 s34, 0
	s_cbranch_scc0 .LBB0_83
.LBB0_43:
	s_cmp_ngt_f32 s35, 0
	s_cbranch_scc0 .LBB0_84
.LBB0_44:
	s_endpgm
.LBB0_45:
	s_wait_xcnt 0x0
	v_mov_b32_e32 v0, 0
	s_add_nc_u64 s[16:17], s[44:45], -4
	global_load_b32 v1, v0, s[48:49] offset:-4
	s_wait_xcnt 0x0
	s_add_nc_u64 s[48:49], s[48:49], -4
	s_wait_loadcnt 0x0
	global_store_b32 v0, v1, s[44:45] offset:-4
	s_wait_xcnt 0x0
	s_mov_b64 s[44:45], s[16:17]
	s_cmp_ngt_f32 s19, 0
	s_cbranch_scc1 .LBB0_6
.LBB0_46:
	s_wait_xcnt 0x0
	v_mov_b32_e32 v0, 0
	s_add_nc_u64 s[16:17], s[44:45], -4
	global_load_b32 v1, v0, s[48:49] offset:-4
	s_wait_xcnt 0x0
	s_add_nc_u64 s[48:49], s[48:49], -4
	s_wait_loadcnt 0x0
	global_store_b32 v0, v1, s[44:45] offset:-4
	s_wait_xcnt 0x0
	s_mov_b64 s[44:45], s[16:17]
	s_cmp_ngt_f32 s20, 0
	s_cbranch_scc1 .LBB0_7
.LBB0_47:
	s_wait_xcnt 0x0
	v_mov_b32_e32 v0, 0
	s_add_nc_u64 s[16:17], s[44:45], -4
	global_load_b32 v1, v0, s[48:49] offset:-4
	s_wait_xcnt 0x0
	s_add_nc_u64 s[48:49], s[48:49], -4
	s_wait_loadcnt 0x0
	global_store_b32 v0, v1, s[44:45] offset:-4
	s_wait_xcnt 0x0
	s_mov_b64 s[44:45], s[16:17]
	s_cmp_ngt_f32 s21, 0
	s_cbranch_scc1 .LBB0_8
.LBB0_48:
	s_wait_xcnt 0x0
	v_mov_b32_e32 v0, 0
	s_add_nc_u64 s[16:17], s[44:45], -4
	global_load_b32 v1, v0, s[48:49] offset:-4
	s_wait_xcnt 0x0
	s_add_nc_u64 s[48:49], s[48:49], -4
	s_wait_loadcnt 0x0
	global_store_b32 v0, v1, s[44:45] offset:-4
	s_wait_xcnt 0x0
	s_mov_b64 s[44:45], s[16:17]
	s_cmp_ngt_f32 s22, 0
	s_cbranch_scc1 .LBB0_9
.LBB0_49:
	s_wait_xcnt 0x0
	v_mov_b32_e32 v0, 0
	s_add_nc_u64 s[16:17], s[44:45], -4
	global_load_b32 v1, v0, s[48:49] offset:-4
	s_wait_xcnt 0x0
	s_add_nc_u64 s[48:49], s[48:49], -4
	s_wait_loadcnt 0x0
	global_store_b32 v0, v1, s[44:45] offset:-4
	s_wait_xcnt 0x0
	s_mov_b64 s[44:45], s[16:17]
	s_cmp_ngt_f32 s23, 0
	s_cbranch_scc1 .LBB0_10
.LBB0_50:
	s_wait_xcnt 0x0
	v_mov_b32_e32 v0, 0
	s_add_nc_u64 s[16:17], s[44:45], -4
	global_load_b32 v1, v0, s[48:49] offset:-4
	s_wait_xcnt 0x0
	s_add_nc_u64 s[48:49], s[48:49], -4
	s_wait_loadcnt 0x0
	global_store_b32 v0, v1, s[44:45] offset:-4
	s_wait_xcnt 0x0
	s_mov_b64 s[44:45], s[16:17]
	s_cmp_ngt_f32 s24, 0
	s_cbranch_scc1 .LBB0_11
.LBB0_51:
	s_wait_xcnt 0x0
	v_mov_b32_e32 v0, 0
	s_add_nc_u64 s[16:17], s[44:45], -4
	global_load_b32 v1, v0, s[48:49] offset:-4
	s_wait_xcnt 0x0
	s_add_nc_u64 s[48:49], s[48:49], -4
	s_wait_loadcnt 0x0
	global_store_b32 v0, v1, s[44:45] offset:-4
	s_wait_xcnt 0x0
	s_mov_b64 s[44:45], s[16:17]
	s_cmp_ngt_f32 s25, 0
	s_cbranch_scc1 .LBB0_12
.LBB0_52:
	s_wait_xcnt 0x0
	v_mov_b32_e32 v0, 0
	s_add_nc_u64 s[16:17], s[44:45], -4
	global_load_b32 v1, v0, s[48:49] offset:-4
	s_wait_xcnt 0x0
	s_add_nc_u64 s[48:49], s[48:49], -4
	s_wait_loadcnt 0x0
	global_store_b32 v0, v1, s[44:45] offset:-4
	s_wait_xcnt 0x0
	s_mov_b64 s[44:45], s[16:17]
	s_cmp_ngt_f32 s26, 0
	s_cbranch_scc1 .LBB0_13
.LBB0_53:
	s_wait_xcnt 0x0
	v_mov_b32_e32 v0, 0
	s_add_nc_u64 s[16:17], s[44:45], -4
	global_load_b32 v1, v0, s[48:49] offset:-4
	s_wait_xcnt 0x0
	s_add_nc_u64 s[48:49], s[48:49], -4
	s_wait_loadcnt 0x0
	global_store_b32 v0, v1, s[44:45] offset:-4
	s_wait_xcnt 0x0
	s_mov_b64 s[44:45], s[16:17]
	s_cmp_ngt_f32 s27, 0
	s_cbranch_scc1 .LBB0_14
.LBB0_54:
	s_wait_xcnt 0x0
	v_mov_b32_e32 v0, 0
	s_add_nc_u64 s[16:17], s[44:45], -4
	global_load_b32 v1, v0, s[48:49] offset:-4
	s_wait_xcnt 0x0
	s_add_nc_u64 s[48:49], s[48:49], -4
	s_wait_loadcnt 0x0
	global_store_b32 v0, v1, s[44:45] offset:-4
	s_wait_xcnt 0x0
	s_mov_b64 s[44:45], s[16:17]
	s_cmp_ngt_f32 s28, 0
	s_cbranch_scc1 .LBB0_15
.LBB0_55:
	s_wait_xcnt 0x0
	v_mov_b32_e32 v0, 0
	s_add_nc_u64 s[16:17], s[44:45], -4
	global_load_b32 v1, v0, s[48:49] offset:-4
	s_wait_xcnt 0x0
	s_add_nc_u64 s[48:49], s[48:49], -4
	s_wait_loadcnt 0x0
	global_store_b32 v0, v1, s[44:45] offset:-4
	s_wait_xcnt 0x0
	s_mov_b64 s[44:45], s[16:17]
	s_cmp_ngt_f32 s29, 0
	s_cbranch_scc1 .LBB0_16
.LBB0_56:
	s_wait_xcnt 0x0
	v_mov_b32_e32 v0, 0
	s_add_nc_u64 s[16:17], s[44:45], -4
	global_load_b32 v1, v0, s[48:49] offset:-4
	s_wait_xcnt 0x0
	s_add_nc_u64 s[48:49], s[48:49], -4
	s_wait_loadcnt 0x0
	global_store_b32 v0, v1, s[44:45] offset:-4
	s_wait_xcnt 0x0
	s_mov_b64 s[44:45], s[16:17]
	s_cmp_ngt_f32 s30, 0
	s_cbranch_scc1 .LBB0_17
.LBB0_57:
	s_wait_xcnt 0x0
	v_mov_b32_e32 v0, 0
	s_add_nc_u64 s[16:17], s[44:45], -4
	global_load_b32 v1, v0, s[48:49] offset:-4
	s_wait_xcnt 0x0
	s_add_nc_u64 s[48:49], s[48:49], -4
	s_wait_loadcnt 0x0
	global_store_b32 v0, v1, s[44:45] offset:-4
	s_wait_xcnt 0x0
	s_mov_b64 s[44:45], s[16:17]
	s_cmp_ngt_f32 s31, 0
	s_cbranch_scc1 .LBB0_18
.LBB0_58:
	s_wait_xcnt 0x0
	v_mov_b32_e32 v0, 0
	s_add_nc_u64 s[16:17], s[44:45], -4
	global_load_b32 v1, v0, s[48:49] offset:-4
	s_wait_xcnt 0x0
	s_add_nc_u64 s[48:49], s[48:49], -4
	s_wait_loadcnt 0x0
	global_store_b32 v0, v1, s[44:45] offset:-4
	s_wait_xcnt 0x0
	s_mov_b64 s[44:45], s[16:17]
	s_cmp_ngt_f32 s0, 0
	s_cbranch_scc1 .LBB0_19
.LBB0_59:
	s_wait_xcnt 0x0
	v_mov_b32_e32 v0, 0
	s_add_nc_u64 s[16:17], s[44:45], -4
	global_load_b32 v1, v0, s[48:49] offset:-4
	s_wait_xcnt 0x0
	s_add_nc_u64 s[48:49], s[48:49], -4
	s_wait_loadcnt 0x0
	global_store_b32 v0, v1, s[44:45] offset:-4
	s_wait_xcnt 0x0
	s_mov_b64 s[44:45], s[16:17]
	s_cmp_ngt_f32 s1, 0
	s_cbranch_scc1 .LBB0_20
.LBB0_60:
	s_wait_xcnt 0x0
	v_mov_b32_e32 v0, 0
	s_add_nc_u64 s[0:1], s[44:45], -4
	global_load_b32 v1, v0, s[48:49] offset:-4
	s_wait_xcnt 0x0
	s_add_nc_u64 s[48:49], s[48:49], -4
	s_wait_loadcnt 0x0
	global_store_b32 v0, v1, s[44:45] offset:-4
	s_wait_xcnt 0x0
	s_mov_b64 s[44:45], s[0:1]
	s_cmp_ngt_f32 s2, 0
	s_cbranch_scc1 .LBB0_21
.LBB0_61:
	s_wait_xcnt 0x0
	v_mov_b32_e32 v0, 0
	s_add_nc_u64 s[0:1], s[44:45], -4
	global_load_b32 v1, v0, s[48:49] offset:-4
	s_wait_xcnt 0x0
	s_add_nc_u64 s[48:49], s[48:49], -4
	s_wait_loadcnt 0x0
	global_store_b32 v0, v1, s[44:45] offset:-4
	s_wait_xcnt 0x0
	s_mov_b64 s[44:45], s[0:1]
	s_cmp_ngt_f32 s3, 0
	s_cbranch_scc1 .LBB0_22
.LBB0_62:
	s_wait_xcnt 0x0
	v_mov_b32_e32 v0, 0
	s_add_nc_u64 s[0:1], s[44:45], -4
	global_load_b32 v1, v0, s[48:49] offset:-4
	s_wait_xcnt 0x0
	s_add_nc_u64 s[48:49], s[48:49], -4
	s_wait_loadcnt 0x0
	global_store_b32 v0, v1, s[44:45] offset:-4
	s_wait_xcnt 0x0
	s_mov_b64 s[44:45], s[0:1]
	s_cmp_ngt_f32 s4, 0
	s_cbranch_scc1 .LBB0_23
.LBB0_63:
	s_wait_xcnt 0x0
	v_mov_b32_e32 v0, 0
	s_add_nc_u64 s[0:1], s[44:45], -4
	global_load_b32 v1, v0, s[48:49] offset:-4
	s_wait_xcnt 0x0
	s_add_nc_u64 s[48:49], s[48:49], -4
	s_wait_loadcnt 0x0
	global_store_b32 v0, v1, s[44:45] offset:-4
	s_wait_xcnt 0x0
	s_mov_b64 s[44:45], s[0:1]
	s_cmp_ngt_f32 s5, 0
	s_cbranch_scc1 .LBB0_24
.LBB0_64:
	s_wait_xcnt 0x0
	v_mov_b32_e32 v0, 0
	s_add_nc_u64 s[0:1], s[44:45], -4
	global_load_b32 v1, v0, s[48:49] offset:-4
	s_wait_xcnt 0x0
	s_add_nc_u64 s[48:49], s[48:49], -4
	s_wait_loadcnt 0x0
	global_store_b32 v0, v1, s[44:45] offset:-4
	s_wait_xcnt 0x0
	s_mov_b64 s[44:45], s[0:1]
	s_cmp_ngt_f32 s6, 0
	s_cbranch_scc1 .LBB0_25
.LBB0_65:
	s_wait_xcnt 0x0
	v_mov_b32_e32 v0, 0
	s_add_nc_u64 s[0:1], s[44:45], -4
	global_load_b32 v1, v0, s[48:49] offset:-4
	s_wait_xcnt 0x0
	s_add_nc_u64 s[48:49], s[48:49], -4
	s_wait_loadcnt 0x0
	global_store_b32 v0, v1, s[44:45] offset:-4
	s_wait_xcnt 0x0
	s_mov_b64 s[44:45], s[0:1]
	s_cmp_ngt_f32 s7, 0
	s_cbranch_scc1 .LBB0_26
.LBB0_66:
	s_wait_xcnt 0x0
	v_mov_b32_e32 v0, 0
	s_add_nc_u64 s[0:1], s[44:45], -4
	global_load_b32 v1, v0, s[48:49] offset:-4
	s_wait_xcnt 0x0
	s_add_nc_u64 s[48:49], s[48:49], -4
	s_wait_loadcnt 0x0
	global_store_b32 v0, v1, s[44:45] offset:-4
	s_wait_xcnt 0x0
	s_mov_b64 s[44:45], s[0:1]
	s_cmp_ngt_f32 s8, 0
	s_cbranch_scc1 .LBB0_27
.LBB0_67:
	s_wait_xcnt 0x0
	v_mov_b32_e32 v0, 0
	s_add_nc_u64 s[0:1], s[44:45], -4
	global_load_b32 v1, v0, s[48:49] offset:-4
	s_wait_xcnt 0x0
	s_add_nc_u64 s[48:49], s[48:49], -4
	s_wait_loadcnt 0x0
	global_store_b32 v0, v1, s[44:45] offset:-4
	s_wait_xcnt 0x0
	s_mov_b64 s[44:45], s[0:1]
	s_cmp_ngt_f32 s9, 0
	s_cbranch_scc1 .LBB0_28
.LBB0_68:
	s_wait_xcnt 0x0
	v_mov_b32_e32 v0, 0
	s_add_nc_u64 s[0:1], s[44:45], -4
	global_load_b32 v1, v0, s[48:49] offset:-4
	s_wait_xcnt 0x0
	s_add_nc_u64 s[48:49], s[48:49], -4
	s_wait_loadcnt 0x0
	global_store_b32 v0, v1, s[44:45] offset:-4
	s_wait_xcnt 0x0
	s_mov_b64 s[44:45], s[0:1]
	s_cmp_ngt_f32 s10, 0
	s_cbranch_scc1 .LBB0_29
.LBB0_69:
	s_wait_xcnt 0x0
	v_mov_b32_e32 v0, 0
	s_add_nc_u64 s[0:1], s[44:45], -4
	global_load_b32 v1, v0, s[48:49] offset:-4
	s_wait_xcnt 0x0
	s_add_nc_u64 s[48:49], s[48:49], -4
	s_wait_loadcnt 0x0
	global_store_b32 v0, v1, s[44:45] offset:-4
	s_wait_xcnt 0x0
	s_mov_b64 s[44:45], s[0:1]
	s_cmp_ngt_f32 s11, 0
	s_cbranch_scc1 .LBB0_30
.LBB0_70:
	s_wait_xcnt 0x0
	v_mov_b32_e32 v0, 0
	s_add_nc_u64 s[0:1], s[44:45], -4
	global_load_b32 v1, v0, s[48:49] offset:-4
	s_wait_xcnt 0x0
	s_add_nc_u64 s[48:49], s[48:49], -4
	s_wait_loadcnt 0x0
	global_store_b32 v0, v1, s[44:45] offset:-4
	s_wait_xcnt 0x0
	s_mov_b64 s[44:45], s[0:1]
	s_cmp_ngt_f32 s12, 0
	s_cbranch_scc1 .LBB0_31
.LBB0_71:
	s_wait_xcnt 0x0
	v_mov_b32_e32 v0, 0
	s_add_nc_u64 s[0:1], s[44:45], -4
	global_load_b32 v1, v0, s[48:49] offset:-4
	s_wait_xcnt 0x0
	s_add_nc_u64 s[48:49], s[48:49], -4
	s_wait_loadcnt 0x0
	global_store_b32 v0, v1, s[44:45] offset:-4
	s_wait_xcnt 0x0
	s_mov_b64 s[44:45], s[0:1]
	s_cmp_ngt_f32 s13, 0
	s_cbranch_scc1 .LBB0_32
.LBB0_72:
	s_wait_xcnt 0x0
	v_mov_b32_e32 v0, 0
	s_add_nc_u64 s[0:1], s[44:45], -4
	global_load_b32 v1, v0, s[48:49] offset:-4
	s_wait_xcnt 0x0
	s_add_nc_u64 s[48:49], s[48:49], -4
	s_wait_loadcnt 0x0
	global_store_b32 v0, v1, s[44:45] offset:-4
	s_wait_xcnt 0x0
	s_mov_b64 s[44:45], s[0:1]
	s_cmp_ngt_f32 s14, 0
	s_cbranch_scc1 .LBB0_33
.LBB0_73:
	s_wait_xcnt 0x0
	v_mov_b32_e32 v0, 0
	s_add_nc_u64 s[0:1], s[44:45], -4
	global_load_b32 v1, v0, s[48:49] offset:-4
	s_wait_xcnt 0x0
	s_add_nc_u64 s[48:49], s[48:49], -4
	s_wait_loadcnt 0x0
	global_store_b32 v0, v1, s[44:45] offset:-4
	s_wait_xcnt 0x0
	s_mov_b64 s[44:45], s[0:1]
	s_cmp_ngt_f32 s15, 0
	s_cbranch_scc1 .LBB0_34
.LBB0_74:
	s_wait_xcnt 0x0
	v_mov_b32_e32 v0, 0
	s_add_nc_u64 s[0:1], s[44:45], -4
	global_load_b32 v1, v0, s[48:49] offset:-4
	s_wait_xcnt 0x0
	s_add_nc_u64 s[48:49], s[48:49], -4
	s_wait_loadcnt 0x0
	global_store_b32 v0, v1, s[44:45] offset:-4
	s_wait_xcnt 0x0
	s_mov_b64 s[44:45], s[0:1]
	s_cmp_ngt_f32 s36, 0
	s_cbranch_scc1 .LBB0_35
.LBB0_75:
	s_wait_xcnt 0x0
	v_mov_b32_e32 v0, 0
	s_add_nc_u64 s[0:1], s[44:45], -4
	global_load_b32 v1, v0, s[48:49] offset:-4
	s_wait_xcnt 0x0
	s_add_nc_u64 s[48:49], s[48:49], -4
	s_wait_loadcnt 0x0
	global_store_b32 v0, v1, s[44:45] offset:-4
	s_wait_xcnt 0x0
	s_mov_b64 s[44:45], s[0:1]
	s_cmp_ngt_f32 s37, 0
	s_cbranch_scc1 .LBB0_36
.LBB0_76:
	s_wait_xcnt 0x0
	v_mov_b32_e32 v0, 0
	s_add_nc_u64 s[0:1], s[44:45], -4
	global_load_b32 v1, v0, s[48:49] offset:-4
	s_wait_xcnt 0x0
	s_add_nc_u64 s[48:49], s[48:49], -4
	s_wait_loadcnt 0x0
	global_store_b32 v0, v1, s[44:45] offset:-4
	s_wait_xcnt 0x0
	s_mov_b64 s[44:45], s[0:1]
	s_cmp_ngt_f32 s38, 0
	s_cbranch_scc1 .LBB0_37
.LBB0_77:
	s_wait_xcnt 0x0
	v_mov_b32_e32 v0, 0
	s_add_nc_u64 s[0:1], s[44:45], -4
	global_load_b32 v1, v0, s[48:49] offset:-4
	s_wait_xcnt 0x0
	s_add_nc_u64 s[48:49], s[48:49], -4
	s_wait_loadcnt 0x0
	global_store_b32 v0, v1, s[44:45] offset:-4
	s_wait_xcnt 0x0
	s_mov_b64 s[44:45], s[0:1]
	s_cmp_ngt_f32 s39, 0
	s_cbranch_scc1 .LBB0_38
.LBB0_78:
	s_wait_xcnt 0x0
	v_mov_b32_e32 v0, 0
	s_add_nc_u64 s[0:1], s[44:45], -4
	global_load_b32 v1, v0, s[48:49] offset:-4
	s_wait_xcnt 0x0
	s_add_nc_u64 s[48:49], s[48:49], -4
	s_wait_loadcnt 0x0
	global_store_b32 v0, v1, s[44:45] offset:-4
	s_wait_xcnt 0x0
	s_mov_b64 s[44:45], s[0:1]
	s_cmp_ngt_f32 s40, 0
	s_cbranch_scc1 .LBB0_39
.LBB0_79:
	s_wait_xcnt 0x0
	v_mov_b32_e32 v0, 0
	s_add_nc_u64 s[0:1], s[44:45], -4
	global_load_b32 v1, v0, s[48:49] offset:-4
	s_wait_xcnt 0x0
	s_add_nc_u64 s[48:49], s[48:49], -4
	s_wait_loadcnt 0x0
	global_store_b32 v0, v1, s[44:45] offset:-4
	s_wait_xcnt 0x0
	s_mov_b64 s[44:45], s[0:1]
	s_cmp_ngt_f32 s41, 0
	s_cbranch_scc1 .LBB0_40
.LBB0_80:
	s_wait_xcnt 0x0
	v_mov_b32_e32 v0, 0
	s_add_nc_u64 s[0:1], s[44:45], -4
	global_load_b32 v1, v0, s[48:49] offset:-4
	s_wait_xcnt 0x0
	s_add_nc_u64 s[48:49], s[48:49], -4
	s_wait_loadcnt 0x0
	global_store_b32 v0, v1, s[44:45] offset:-4
	s_wait_xcnt 0x0
	s_mov_b64 s[44:45], s[0:1]
	s_cmp_ngt_f32 s42, 0
	s_cbranch_scc1 .LBB0_41
.LBB0_81:
	s_wait_xcnt 0x0
	v_mov_b32_e32 v0, 0
	s_add_nc_u64 s[0:1], s[44:45], -4
	global_load_b32 v1, v0, s[48:49] offset:-4
	s_wait_xcnt 0x0
	s_add_nc_u64 s[48:49], s[48:49], -4
	s_wait_loadcnt 0x0
	global_store_b32 v0, v1, s[44:45] offset:-4
	s_wait_xcnt 0x0
	s_mov_b64 s[44:45], s[0:1]
	s_cmp_ngt_f32 s43, 0
	s_cbranch_scc1 .LBB0_42
.LBB0_82:
	s_wait_xcnt 0x0
	v_mov_b32_e32 v0, 0
	s_add_nc_u64 s[0:1], s[44:45], -4
	global_load_b32 v1, v0, s[48:49] offset:-4
	s_wait_xcnt 0x0
	s_add_nc_u64 s[48:49], s[48:49], -4
	s_wait_loadcnt 0x0
	global_store_b32 v0, v1, s[44:45] offset:-4
	s_wait_xcnt 0x0
	s_mov_b64 s[44:45], s[0:1]
	s_cmp_ngt_f32 s34, 0
	s_cbranch_scc1 .LBB0_43
.LBB0_83:
	s_wait_xcnt 0x0
	v_mov_b32_e32 v0, 0
	s_add_nc_u64 s[0:1], s[44:45], -4
	global_load_b32 v1, v0, s[48:49] offset:-4
	s_wait_xcnt 0x0
	s_add_nc_u64 s[48:49], s[48:49], -4
	s_wait_loadcnt 0x0
	global_store_b32 v0, v1, s[44:45] offset:-4
	s_wait_xcnt 0x0
	s_mov_b64 s[44:45], s[0:1]
	s_cmp_ngt_f32 s35, 0
	s_cbranch_scc1 .LBB0_44
.LBB0_84:
	s_wait_xcnt 0x0
	v_mov_b32_e32 v0, 0
	global_load_b32 v1, v0, s[48:49] offset:-4
	s_wait_loadcnt 0x0
	global_store_b32 v0, v1, s[44:45] offset:-4
	s_endpgm
	.section	.rodata,"a",@progbits
	.p2align	6, 0x0
	.amdhsa_kernel _Z2fnPfS_
		.amdhsa_group_segment_fixed_size 0
		.amdhsa_private_segment_fixed_size 0
		.amdhsa_kernarg_size 16
		.amdhsa_user_sgpr_count 2
		.amdhsa_user_sgpr_dispatch_ptr 0
		.amdhsa_user_sgpr_queue_ptr 0
		.amdhsa_user_sgpr_kernarg_segment_ptr 1
		.amdhsa_user_sgpr_dispatch_id 0
		.amdhsa_user_sgpr_kernarg_preload_length 0
		.amdhsa_user_sgpr_kernarg_preload_offset 0
		.amdhsa_user_sgpr_private_segment_size 0
		.amdhsa_wavefront_size32 1
		.amdhsa_uses_dynamic_stack 0
		.amdhsa_enable_private_segment 0
		.amdhsa_system_sgpr_workgroup_id_x 1
		.amdhsa_system_sgpr_workgroup_id_y 0
		.amdhsa_system_sgpr_workgroup_id_z 0
		.amdhsa_system_sgpr_workgroup_info 0
		.amdhsa_system_vgpr_workitem_id 0
		.amdhsa_next_free_vgpr 2
		.amdhsa_next_free_sgpr 50
		.amdhsa_named_barrier_count 0
		.amdhsa_reserve_vcc 0
		.amdhsa_float_round_mode_32 0
		.amdhsa_float_round_mode_16_64 0
		.amdhsa_float_denorm_mode_32 3
		.amdhsa_float_denorm_mode_16_64 3
		.amdhsa_fp16_overflow 0
		.amdhsa_memory_ordered 1
		.amdhsa_forward_progress 1
		.amdhsa_inst_pref_size 24
		.amdhsa_round_robin_scheduling 0
		.amdhsa_exception_fp_ieee_invalid_op 0
		.amdhsa_exception_fp_denorm_src 0
		.amdhsa_exception_fp_ieee_div_zero 0
		.amdhsa_exception_fp_ieee_overflow 0
		.amdhsa_exception_fp_ieee_underflow 0
		.amdhsa_exception_fp_ieee_inexact 0
		.amdhsa_exception_int_div_zero 0
	.end_amdhsa_kernel
	.text
.Lfunc_end0:
	.size	_Z2fnPfS_, .Lfunc_end0-_Z2fnPfS_
                                        ; -- End function
	.set _Z2fnPfS_.num_vgpr, 2
	.set _Z2fnPfS_.num_agpr, 0
	.set _Z2fnPfS_.numbered_sgpr, 50
	.set _Z2fnPfS_.num_named_barrier, 0
	.set _Z2fnPfS_.private_seg_size, 0
	.set _Z2fnPfS_.uses_vcc, 0
	.set _Z2fnPfS_.uses_flat_scratch, 0
	.set _Z2fnPfS_.has_dyn_sized_stack, 0
	.set _Z2fnPfS_.has_recursion, 0
	.set _Z2fnPfS_.has_indirect_call, 0
	.section	.AMDGPU.csdata,"",@progbits
; Kernel info:
; codeLenInByte = 3048
; TotalNumSgprs: 50
; NumVgprs: 2
; ScratchSize: 0
; MemoryBound: 1
; FloatMode: 240
; IeeeMode: 1
; LDSByteSize: 0 bytes/workgroup (compile time only)
; SGPRBlocks: 0
; VGPRBlocks: 0
; NumSGPRsForWavesPerEU: 50
; NumVGPRsForWavesPerEU: 2
; NamedBarCnt: 0
; Occupancy: 16
; WaveLimiterHint : 0
; COMPUTE_PGM_RSRC2:SCRATCH_EN: 0
; COMPUTE_PGM_RSRC2:USER_SGPR: 2
; COMPUTE_PGM_RSRC2:TRAP_HANDLER: 0
; COMPUTE_PGM_RSRC2:TGID_X_EN: 1
; COMPUTE_PGM_RSRC2:TGID_Y_EN: 0
; COMPUTE_PGM_RSRC2:TGID_Z_EN: 0
; COMPUTE_PGM_RSRC2:TIDIG_COMP_CNT: 0
	.text
	.p2alignl 7, 3214868480
	.fill 96, 4, 3214868480
	.section	.AMDGPU.gpr_maximums,"",@progbits
	.set amdgpu.max_num_vgpr, 0
	.set amdgpu.max_num_agpr, 0
	.set amdgpu.max_num_sgpr, 0
	.text
	.type	__hip_cuid_93f2975143fc4849,@object ; @__hip_cuid_93f2975143fc4849
	.section	.bss,"aw",@nobits
	.globl	__hip_cuid_93f2975143fc4849
__hip_cuid_93f2975143fc4849:
	.byte	0                               ; 0x0
	.size	__hip_cuid_93f2975143fc4849, 1

	.ident	"AMD clang version 22.0.0git (https://github.com/RadeonOpenCompute/llvm-project roc-7.2.4 26084 f58b06dce1f9c15707c5f808fd002e18c2accf7e)"
	.section	".note.GNU-stack","",@progbits
	.addrsig
	.addrsig_sym __hip_cuid_93f2975143fc4849
	.amdgpu_metadata
---
amdhsa.kernels:
  - .args:
      - .address_space:  global
        .offset:         0
        .size:           8
        .value_kind:     global_buffer
      - .address_space:  global
        .offset:         8
        .size:           8
        .value_kind:     global_buffer
    .group_segment_fixed_size: 0
    .kernarg_segment_align: 8
    .kernarg_segment_size: 16
    .language:       OpenCL C
    .language_version:
      - 2
      - 0
    .max_flat_workgroup_size: 1024
    .name:           _Z2fnPfS_
    .private_segment_fixed_size: 0
    .sgpr_count:     50
    .sgpr_spill_count: 0
    .symbol:         _Z2fnPfS_.kd
    .uniform_work_group_size: 1
    .uses_dynamic_stack: false
    .vgpr_count:     2
    .vgpr_spill_count: 0
    .wavefront_size: 32
amdhsa.target:   amdgcn-amd-amdhsa--gfx1250
amdhsa.version:
  - 1
  - 2
...

	.end_amdgpu_metadata
